;; amdgpu-corpus repo=ROCm/rocFFT kind=compiled arch=gfx1030 opt=O3
	.text
	.amdgcn_target "amdgcn-amd-amdhsa--gfx1030"
	.amdhsa_code_object_version 6
	.protected	bluestein_single_fwd_len40_dim1_sp_op_CI_CI ; -- Begin function bluestein_single_fwd_len40_dim1_sp_op_CI_CI
	.globl	bluestein_single_fwd_len40_dim1_sp_op_CI_CI
	.p2align	8
	.type	bluestein_single_fwd_len40_dim1_sp_op_CI_CI,@function
bluestein_single_fwd_len40_dim1_sp_op_CI_CI: ; @bluestein_single_fwd_len40_dim1_sp_op_CI_CI
; %bb.0:
	s_load_dwordx4 s[0:3], s[4:5], 0x28
	v_mul_u32_u24_e32 v1, 0x199a, v0
	v_lshrrev_b32_e32 v1, 16, v1
	v_mad_u64_u32 v[24:25], null, s6, 12, v[1:2]
	v_mov_b32_e32 v25, 0
	s_waitcnt lgkmcnt(0)
	v_cmp_gt_u64_e32 vcc_lo, s[0:1], v[24:25]
	s_and_saveexec_b32 s0, vcc_lo
	s_cbranch_execz .LBB0_15
; %bb.1:
	v_mul_hi_u32 v2, 0xaaaaaaab, v24
	v_mul_lo_u16 v1, v1, 10
	s_clause 0x1
	s_load_dwordx2 s[12:13], s[4:5], 0x0
	s_load_dwordx2 s[6:7], s[4:5], 0x38
	v_sub_nc_u16 v0, v0, v1
	v_lshrrev_b32_e32 v2, 3, v2
	v_and_b32_e32 v27, 0xffff, v0
	v_cmp_gt_u16_e32 vcc_lo, 4, v0
	v_mul_lo_u32 v2, v2, 12
	v_lshlrev_b32_e32 v37, 3, v27
	v_or_b32_e32 v28, 4, v27
	v_or_b32_e32 v29, 8, v27
	;; [unrolled: 1-line block ×4, first 2 shown]
	v_sub_nc_u32_e32 v1, v24, v2
	v_or_b32_e32 v32, 20, v27
	v_or_b32_e32 v33, 24, v27
	;; [unrolled: 1-line block ×4, first 2 shown]
	v_mul_u32_u24_e32 v20, 40, v1
	v_or_b32_e32 v36, 36, v27
	v_or_b32_e32 v0, v20, v27
	v_add_lshl_u32 v39, v20, v27, 3
	v_lshlrev_b32_e32 v38, 3, v0
	s_and_saveexec_b32 s1, vcc_lo
	s_cbranch_execz .LBB0_3
; %bb.2:
	s_load_dwordx2 s[8:9], s[4:5], 0x18
	s_waitcnt lgkmcnt(0)
	s_load_dwordx4 s[8:11], s[8:9], 0x0
	s_clause 0x3
	global_load_dwordx2 v[0:1], v37, s[12:13]
	global_load_dwordx2 v[2:3], v37, s[12:13] offset:32
	global_load_dwordx2 v[4:5], v37, s[12:13] offset:64
	;; [unrolled: 1-line block ×3, first 2 shown]
	s_waitcnt lgkmcnt(0)
	v_mad_u64_u32 v[8:9], null, s10, v24, 0
	v_mad_u64_u32 v[10:11], null, s8, v27, 0
	;; [unrolled: 1-line block ×7, first 2 shown]
	v_mov_b32_e32 v23, v26
	v_mov_b32_e32 v26, v41
	v_mad_u64_u32 v[41:42], null, s11, v24, v[9:10]
	v_mad_u64_u32 v[18:19], null, s8, v31, 0
	;; [unrolled: 1-line block ×5, first 2 shown]
	v_mov_b32_e32 v9, v41
	v_mad_u64_u32 v[45:46], null, s9, v30, v[17:18]
	v_mad_u64_u32 v[46:47], null, s9, v31, v[19:20]
	;; [unrolled: 1-line block ×3, first 2 shown]
	v_mov_b32_e32 v11, v42
	v_lshlrev_b64 v[8:9], 3, v[8:9]
	v_mov_b32_e32 v13, v43
	v_mov_b32_e32 v17, v45
	v_mov_b32_e32 v19, v46
	v_lshlrev_b64 v[10:11], 3, v[10:11]
	v_mov_b32_e32 v15, v44
	v_add_co_u32 v50, s0, s2, v8
	v_mad_u64_u32 v[47:48], null, s9, v32, v[22:23]
	v_lshlrev_b64 v[12:13], 3, v[12:13]
	v_add_co_ci_u32_e64 v51, s0, s3, v9, s0
	v_mad_u64_u32 v[41:42], null, s9, v34, v[26:27]
	v_lshlrev_b64 v[8:9], 3, v[16:17]
	v_lshlrev_b64 v[16:17], 3, v[18:19]
	v_mad_u64_u32 v[18:19], null, s9, v33, v[23:24]
	v_mad_u64_u32 v[42:43], null, s8, v35, 0
	v_lshlrev_b64 v[14:15], 3, v[14:15]
	v_add_co_u32 v10, s0, v50, v10
	v_add_co_ci_u32_e64 v11, s0, v51, v11, s0
	v_add_co_u32 v12, s0, v50, v12
	v_mov_b32_e32 v22, v47
	v_add_co_ci_u32_e64 v13, s0, v51, v13, s0
	v_add_co_u32 v14, s0, v50, v14
	v_mov_b32_e32 v26, v18
	v_mov_b32_e32 v18, v43
	v_mad_u64_u32 v[44:45], null, s8, v36, 0
	v_add_co_ci_u32_e64 v15, s0, v51, v15, s0
	v_add_co_u32 v8, s0, v50, v8
	v_lshlrev_b64 v[21:22], 3, v[21:22]
	v_add_co_ci_u32_e64 v9, s0, v51, v9, s0
	v_add_co_u32 v16, s0, v50, v16
	v_lshlrev_b64 v[25:26], 3, v[25:26]
	v_mad_u64_u32 v[18:19], null, s9, v35, v[18:19]
	v_add_co_ci_u32_e64 v17, s0, v51, v17, s0
	v_add_co_u32 v21, s0, v50, v21
	v_lshlrev_b64 v[40:41], 3, v[40:41]
	v_mov_b32_e32 v19, v45
	v_add_co_ci_u32_e64 v22, s0, v51, v22, s0
	v_add_co_u32 v25, s0, v50, v25
	v_add_co_ci_u32_e64 v26, s0, v51, v26, s0
	v_mad_u64_u32 v[45:46], null, s9, v36, v[19:20]
	v_mov_b32_e32 v43, v18
	v_add_co_u32 v40, s0, v50, v40
	v_add_co_ci_u32_e64 v41, s0, v51, v41, s0
	s_clause 0x7
	global_load_dwordx2 v[10:11], v[10:11], off
	global_load_dwordx2 v[12:13], v[12:13], off
	;; [unrolled: 1-line block ×8, first 2 shown]
	v_lshlrev_b64 v[40:41], 3, v[42:43]
	v_lshlrev_b64 v[44:45], 3, v[44:45]
	s_clause 0x2
	global_load_dwordx2 v[42:43], v37, s[12:13] offset:128
	global_load_dwordx2 v[46:47], v37, s[12:13] offset:160
	;; [unrolled: 1-line block ×3, first 2 shown]
	v_lshl_add_u32 v23, v20, 3, v37
	v_add_co_u32 v40, s0, v50, v40
	v_add_co_ci_u32_e64 v41, s0, v51, v41, s0
	v_add_co_u32 v44, s0, v50, v44
	v_add_co_ci_u32_e64 v45, s0, v51, v45, s0
	global_load_dwordx2 v[50:51], v37, s[12:13] offset:224
	global_load_dwordx2 v[40:41], v[40:41], off
	s_clause 0x1
	global_load_dwordx2 v[52:53], v37, s[12:13] offset:256
	global_load_dwordx2 v[54:55], v37, s[12:13] offset:288
	global_load_dwordx2 v[44:45], v[44:45], off
	s_waitcnt vmcnt(15)
	v_mul_f32_e32 v56, v11, v1
	v_mul_f32_e32 v57, v10, v1
	s_waitcnt vmcnt(14)
	v_mul_f32_e32 v59, v12, v3
	v_mul_f32_e32 v58, v13, v3
	;; [unrolled: 3-line block ×7, first 2 shown]
	v_fmac_f32_e32 v56, v10, v0
	s_waitcnt vmcnt(4)
	v_mul_f32_e32 v49, v26, v51
	v_mul_f32_e32 v65, v25, v51
	s_waitcnt vmcnt(2)
	v_mul_f32_e32 v51, v41, v53
	v_mul_f32_e32 v53, v40, v53
	;; [unrolled: 3-line block ×3, first 2 shown]
	v_fma_f32 v57, v11, v0, -v57
	v_fma_f32 v59, v13, v2, -v59
	v_fmac_f32_e32 v58, v12, v2
	v_fma_f32 v2, v15, v4, -v60
	v_fmac_f32_e32 v1, v14, v4
	v_fmac_f32_e32 v3, v8, v6
	v_fma_f32 v4, v9, v6, -v61
	v_fma_f32 v6, v17, v42, -v62
	v_fmac_f32_e32 v5, v16, v42
	v_fma_f32 v8, v19, v46, -v63
	v_fmac_f32_e32 v7, v18, v46
	v_fmac_f32_e32 v47, v21, v48
	v_fma_f32 v48, v22, v48, -v64
	v_fmac_f32_e32 v49, v25, v50
	v_fma_f32 v50, v26, v50, -v65
	;; [unrolled: 2-line block ×4, first 2 shown]
	ds_write_b64 v38, v[56:57]
	ds_write_b64 v39, v[58:59] offset:32
	ds_write2_b64 v23, v[1:2], v[3:4] offset0:8 offset1:12
	ds_write2_b64 v23, v[5:6], v[7:8] offset0:16 offset1:20
	;; [unrolled: 1-line block ×4, first 2 shown]
.LBB0_3:
	s_or_b32 exec_lo, exec_lo, s1
	s_load_dwordx2 s[0:1], s[4:5], 0x20
	v_lshlrev_b32_e32 v40, 3, v20
	s_waitcnt lgkmcnt(0)
	s_barrier
	buffer_gl0_inv
                                        ; implicit-def: $vgpr5
                                        ; implicit-def: $vgpr15
                                        ; implicit-def: $vgpr11
                                        ; implicit-def: $vgpr16
                                        ; implicit-def: $vgpr2
	s_and_saveexec_b32 s2, vcc_lo
	s_cbranch_execz .LBB0_5
; %bb.4:
	v_lshl_add_u32 v16, v27, 3, v40
	ds_read2_b64 v[0:3], v38 offset1:4
	ds_read2_b64 v[8:11], v16 offset0:8 offset1:12
	ds_read2_b64 v[12:15], v16 offset0:16 offset1:20
	;; [unrolled: 1-line block ×4, first 2 shown]
.LBB0_5:
	s_or_b32 exec_lo, exec_lo, s2
	s_waitcnt lgkmcnt(1)
	v_add_f32_e32 v21, v4, v12
	v_add_f32_e32 v22, v8, v0
	s_waitcnt lgkmcnt(0)
	v_sub_f32_e32 v25, v9, v17
	v_add_f32_e32 v43, v16, v8
	v_sub_f32_e32 v26, v13, v5
	v_fma_f32 v42, -0.5, v21, v0
	v_sub_f32_e32 v23, v8, v12
	v_sub_f32_e32 v41, v16, v4
	v_add_f32_e32 v22, v12, v22
	v_fmac_f32_e32 v0, -0.5, v43
	v_fmamk_f32 v21, v25, 0x3f737871, v42
	v_fmac_f32_e32 v42, 0xbf737871, v25
	v_add_f32_e32 v45, v9, v1
	v_add_f32_e32 v41, v41, v23
	;; [unrolled: 1-line block ×3, first 2 shown]
	v_fmac_f32_e32 v21, 0x3f167918, v26
	v_fmamk_f32 v22, v26, 0xbf737871, v0
	v_fmac_f32_e32 v42, 0xbf167918, v26
	v_add_f32_e32 v46, v5, v13
	v_fmac_f32_e32 v0, 0x3f737871, v26
	v_add_f32_e32 v26, v13, v45
	v_sub_f32_e32 v44, v12, v8
	v_fmac_f32_e32 v22, 0x3f167918, v25
	v_fma_f32 v46, -0.5, v46, v1
	v_sub_f32_e32 v8, v8, v16
	v_fmac_f32_e32 v0, 0xbf167918, v25
	v_add_f32_e32 v25, v5, v26
	v_add_f32_e32 v26, v17, v9
	v_sub_f32_e32 v43, v4, v16
	v_add_f32_e32 v23, v16, v23
	v_fmac_f32_e32 v21, 0x3e9e377a, v41
	v_fmac_f32_e32 v42, 0x3e9e377a, v41
	v_fmamk_f32 v16, v8, 0xbf737871, v46
	v_sub_f32_e32 v4, v12, v4
	v_sub_f32_e32 v12, v9, v13
	;; [unrolled: 1-line block ×3, first 2 shown]
	v_fmac_f32_e32 v1, -0.5, v26
	v_fmac_f32_e32 v46, 0x3f737871, v8
	v_sub_f32_e32 v9, v13, v9
	v_sub_f32_e32 v5, v5, v17
	v_add_f32_e32 v13, v10, v2
	v_fmac_f32_e32 v16, 0xbf167918, v4
	v_fmamk_f32 v26, v4, 0x3f737871, v1
	v_fmac_f32_e32 v46, 0x3f167918, v4
	v_add_f32_e32 v5, v5, v9
	v_fmac_f32_e32 v1, 0xbf737871, v4
	v_add_f32_e32 v4, v14, v13
	v_add_f32_e32 v9, v14, v6
	;; [unrolled: 1-line block ×3, first 2 shown]
	v_fmac_f32_e32 v26, 0xbf167918, v8
	v_fmac_f32_e32 v1, 0x3f167918, v8
	v_add_f32_e32 v4, v6, v4
	v_fma_f32 v8, -0.5, v9, v2
	v_add_f32_e32 v9, v10, v18
	v_add_f32_e32 v25, v17, v25
	v_fmac_f32_e32 v16, 0x3e9e377a, v12
	v_fmac_f32_e32 v46, 0x3e9e377a, v12
	v_sub_f32_e32 v12, v11, v19
	v_add_f32_e32 v17, v18, v4
	v_sub_f32_e32 v4, v15, v7
	v_fmac_f32_e32 v2, -0.5, v9
	v_add_f32_e32 v43, v43, v44
	v_fmac_f32_e32 v26, 0x3e9e377a, v5
	v_fmac_f32_e32 v1, 0x3e9e377a, v5
	v_fmamk_f32 v5, v12, 0x3f737871, v8
	v_sub_f32_e32 v9, v10, v14
	v_sub_f32_e32 v13, v18, v6
	v_fmac_f32_e32 v8, 0xbf737871, v12
	v_fmamk_f32 v45, v4, 0xbf737871, v2
	v_fmac_f32_e32 v2, 0x3f737871, v4
	v_fmac_f32_e32 v22, 0x3e9e377a, v43
	;; [unrolled: 1-line block ×3, first 2 shown]
	v_sub_f32_e32 v41, v14, v10
	v_sub_f32_e32 v43, v6, v18
	v_fmac_f32_e32 v5, 0x3f167918, v4
	v_add_f32_e32 v9, v9, v13
	v_fmac_f32_e32 v8, 0xbf167918, v4
	v_fmac_f32_e32 v45, 0x3f167918, v12
	v_add_f32_e32 v4, v15, v7
	v_fmac_f32_e32 v2, 0xbf167918, v12
	v_add_f32_e32 v12, v11, v19
	v_add_f32_e32 v13, v41, v43
	v_fmac_f32_e32 v5, 0x3e9e377a, v9
	v_fmac_f32_e32 v8, 0x3e9e377a, v9
	v_add_f32_e32 v9, v11, v3
	v_fma_f32 v4, -0.5, v4, v3
	v_sub_f32_e32 v6, v14, v6
	v_fmac_f32_e32 v3, -0.5, v12
	v_fmac_f32_e32 v45, 0x3e9e377a, v13
	v_sub_f32_e32 v10, v10, v18
	v_fmac_f32_e32 v2, 0x3e9e377a, v13
	v_add_f32_e32 v9, v15, v9
	v_sub_f32_e32 v13, v11, v15
	v_fmamk_f32 v47, v6, 0x3f737871, v3
	v_sub_f32_e32 v11, v15, v11
	v_sub_f32_e32 v15, v7, v19
	v_fmamk_f32 v12, v10, 0xbf737871, v4
	v_sub_f32_e32 v14, v19, v7
	v_fmac_f32_e32 v3, 0xbf737871, v6
	v_fmac_f32_e32 v47, 0xbf167918, v10
	v_add_f32_e32 v11, v11, v15
	v_fmac_f32_e32 v4, 0x3f737871, v10
	v_fmac_f32_e32 v12, 0xbf167918, v6
	v_add_f32_e32 v13, v13, v14
	v_fmac_f32_e32 v3, 0x3f167918, v10
	v_fmac_f32_e32 v47, 0x3e9e377a, v11
	;; [unrolled: 1-line block ×3, first 2 shown]
	s_load_dwordx2 s[2:3], s[4:5], 0x8
	v_add_f32_e32 v7, v7, v9
	v_fmac_f32_e32 v12, 0x3e9e377a, v13
	v_fmac_f32_e32 v3, 0x3e9e377a, v11
	v_mul_f32_e32 v41, 0x3f737871, v47
	v_mul_f32_e32 v6, 0x3e9e377a, v2
	v_fmac_f32_e32 v4, 0x3e9e377a, v13
	v_add_f32_e32 v18, v19, v7
	v_mul_f32_e32 v19, 0x3f167918, v12
	v_mul_f32_e32 v7, 0x3f4f1bbd, v8
	v_fmac_f32_e32 v41, 0x3e9e377a, v45
	v_fma_f32 v43, 0x3f737871, v3, -v6
	v_mul_f32_e32 v6, 0x3f4f1bbd, v4
	v_mul_f32_e32 v44, 0xbf167918, v5
	;; [unrolled: 1-line block ×4, first 2 shown]
	v_fmac_f32_e32 v19, 0x3f4f1bbd, v5
	v_fma_f32 v7, 0x3f167918, v4, -v7
	v_fma_f32 v15, 0xbf167918, v8, -v6
	v_fmac_f32_e32 v44, 0x3f4f1bbd, v12
	v_fmac_f32_e32 v45, 0x3e9e377a, v47
	v_fma_f32 v2, 0xbf737871, v2, -v3
	v_add_f32_e32 v4, v42, v7
	v_add_f32_e32 v5, v46, v15
	v_sub_f32_e32 v6, v23, v17
	v_sub_f32_e32 v8, v21, v19
	;; [unrolled: 1-line block ×10, first 2 shown]
	v_mul_lo_u16 v42, v27, 10
	s_waitcnt lgkmcnt(0)
	s_barrier
	buffer_gl0_inv
	s_and_saveexec_b32 s4, vcc_lo
	s_cbranch_execz .LBB0_7
; %bb.6:
	v_add_f32_e32 v46, v16, v44
	v_and_b32_e32 v16, 0xffff, v42
	v_add_f32_e32 v3, v1, v2
	v_add_f32_e32 v1, v26, v45
	;; [unrolled: 1-line block ×6, first 2 shown]
	v_add_lshl_u32 v16, v20, v16, 3
	v_add_f32_e32 v0, v22, v41
	ds_write_b128 v16, v[43:46]
	ds_write_b128 v16, v[0:3] offset:16
	ds_write_b128 v16, v[4:7] offset:32
	;; [unrolled: 1-line block ×4, first 2 shown]
.LBB0_7:
	s_or_b32 exec_lo, exec_lo, s4
	v_mad_u64_u32 v[16:17], null, v27, 24, s[2:3]
	s_load_dwordx4 s[0:3], s[0:1], 0x0
	s_waitcnt lgkmcnt(0)
	s_barrier
	buffer_gl0_inv
	s_clause 0x1
	global_load_dwordx4 v[0:3], v[16:17], off
	global_load_dwordx2 v[25:26], v[16:17], off offset:16
	ds_read2_b64 v[16:19], v39 offset1:10
	ds_read2_b64 v[20:23], v39 offset0:20 offset1:30
	s_waitcnt vmcnt(1) lgkmcnt(1)
	v_mul_f32_e32 v41, v19, v1
	v_mul_f32_e32 v43, v18, v1
	s_waitcnt lgkmcnt(0)
	v_mul_f32_e32 v44, v21, v3
	v_mul_f32_e32 v45, v20, v3
	s_waitcnt vmcnt(0)
	v_mul_f32_e32 v46, v23, v26
	v_mul_f32_e32 v47, v22, v26
	v_fma_f32 v18, v18, v0, -v41
	v_fmac_f32_e32 v43, v19, v0
	v_fma_f32 v19, v20, v2, -v44
	v_fmac_f32_e32 v45, v21, v2
	;; [unrolled: 2-line block ×3, first 2 shown]
	v_sub_f32_e32 v19, v16, v19
	v_sub_f32_e32 v44, v17, v45
	;; [unrolled: 1-line block ×4, first 2 shown]
	v_fma_f32 v16, v16, 2.0, -v19
	v_fma_f32 v17, v17, 2.0, -v44
	;; [unrolled: 1-line block ×4, first 2 shown]
	v_sub_f32_e32 v22, v19, v21
	v_add_f32_e32 v23, v44, v20
	v_sub_f32_e32 v20, v16, v18
	v_sub_f32_e32 v21, v17, v41
	v_lshl_add_u32 v41, v27, 3, v40
	v_fma_f32 v18, v19, 2.0, -v22
	v_fma_f32 v19, v44, 2.0, -v23
	;; [unrolled: 1-line block ×4, first 2 shown]
	ds_write2_b64 v41, v[20:21], v[22:23] offset0:20 offset1:30
	ds_write2_b64 v41, v[16:17], v[18:19] offset1:10
	s_waitcnt lgkmcnt(0)
	s_barrier
	buffer_gl0_inv
	s_and_saveexec_b32 s4, vcc_lo
	s_cbranch_execz .LBB0_9
; %bb.8:
	global_load_dwordx2 v[43:44], v37, s[12:13] offset:320
	s_add_u32 s8, s12, 0x140
	s_addc_u32 s9, s13, 0
	s_clause 0x8
	global_load_dwordx2 v[45:46], v37, s[8:9] offset:32
	global_load_dwordx2 v[59:60], v37, s[8:9] offset:64
	;; [unrolled: 1-line block ×9, first 2 shown]
	ds_read_b64 v[47:48], v38
	s_waitcnt vmcnt(9) lgkmcnt(0)
	v_mul_f32_e32 v49, v48, v44
	v_mul_f32_e32 v50, v47, v44
	v_fma_f32 v49, v47, v43, -v49
	v_fmac_f32_e32 v50, v48, v43
	ds_write_b64 v38, v[49:50]
	ds_read_b64 v[43:44], v39 offset:32
	s_waitcnt vmcnt(8) lgkmcnt(0)
	v_mul_f32_e32 v48, v44, v46
	v_mul_f32_e32 v47, v43, v46
	v_fma_f32 v46, v43, v45, -v48
	v_fmac_f32_e32 v47, v44, v45
	ds_write_b64 v39, v[46:47] offset:32
	ds_read2_b64 v[43:46], v41 offset0:8 offset1:12
	ds_read2_b64 v[47:50], v41 offset0:16 offset1:20
	;; [unrolled: 1-line block ×4, first 2 shown]
	s_waitcnt vmcnt(7) lgkmcnt(3)
	v_mul_f32_e32 v76, v44, v60
	v_mul_f32_e32 v75, v43, v60
	s_waitcnt vmcnt(6)
	v_mul_f32_e32 v77, v46, v62
	v_mul_f32_e32 v60, v45, v62
	s_waitcnt vmcnt(5) lgkmcnt(2)
	v_mul_f32_e32 v78, v48, v64
	v_mul_f32_e32 v62, v47, v64
	s_waitcnt vmcnt(4)
	v_mul_f32_e32 v79, v50, v66
	v_mul_f32_e32 v64, v49, v66
	;; [unrolled: 6-line block ×4, first 2 shown]
	v_fma_f32 v74, v43, v59, -v76
	v_fmac_f32_e32 v75, v44, v59
	v_fma_f32 v59, v45, v61, -v77
	v_fmac_f32_e32 v60, v46, v61
	;; [unrolled: 2-line block ×8, first 2 shown]
	ds_write2_b64 v41, v[74:75], v[59:60] offset0:8 offset1:12
	ds_write2_b64 v41, v[61:62], v[63:64] offset0:16 offset1:20
	;; [unrolled: 1-line block ×4, first 2 shown]
.LBB0_9:
	s_or_b32 exec_lo, exec_lo, s4
	s_waitcnt lgkmcnt(0)
	s_barrier
	buffer_gl0_inv
	s_and_saveexec_b32 s4, vcc_lo
	s_cbranch_execz .LBB0_11
; %bb.10:
	ds_read2_b64 v[16:19], v38 offset1:4
	ds_read2_b64 v[20:23], v41 offset0:8 offset1:12
	ds_read2_b64 v[4:7], v41 offset0:16 offset1:20
	;; [unrolled: 1-line block ×4, first 2 shown]
.LBB0_11:
	s_or_b32 exec_lo, exec_lo, s4
	s_waitcnt lgkmcnt(0)
	s_barrier
	buffer_gl0_inv
	s_and_saveexec_b32 s4, vcc_lo
	s_cbranch_execz .LBB0_13
; %bb.12:
	v_add_f32_e32 v43, v9, v5
	v_add_f32_e32 v46, v7, v11
	;; [unrolled: 1-line block ×5, first 2 shown]
	v_fma_f32 v50, -0.5, v43, v17
	v_sub_f32_e32 v43, v20, v12
	v_fma_f32 v46, -0.5, v46, v19
	v_sub_f32_e32 v52, v23, v7
	v_sub_f32_e32 v53, v15, v11
	v_add_f32_e32 v63, v22, v14
	v_fma_f32 v61, -0.5, v61, v17
	v_fma_f32 v62, -0.5, v62, v19
	v_add_f32_e32 v17, v21, v17
	v_add_f32_e32 v19, v23, v19
	v_sub_f32_e32 v44, v21, v5
	v_sub_f32_e32 v45, v13, v9
	v_fma_f32 v51, -0.5, v47, v18
	v_sub_f32_e32 v47, v23, v15
	v_sub_f32_e32 v58, v7, v11
	v_add_f32_e32 v52, v52, v53
	v_fmamk_f32 v53, v43, 0xbf737871, v50
	v_sub_f32_e32 v59, v4, v8
	v_fma_f32 v63, -0.5, v63, v18
	v_sub_f32_e32 v66, v7, v23
	v_fmac_f32_e32 v50, 0x3f737871, v43
	v_add_f32_e32 v17, v5, v17
	v_add_f32_e32 v7, v7, v19
	v_sub_f32_e32 v49, v22, v14
	v_fmamk_f32 v57, v47, 0x3f737871, v51
	v_add_f32_e32 v44, v45, v44
	v_fmac_f32_e32 v53, 0xbf167918, v59
	v_sub_f32_e32 v60, v5, v21
	v_sub_f32_e32 v64, v9, v13
	;; [unrolled: 1-line block ×3, first 2 shown]
	v_fmamk_f32 v70, v58, 0xbf737871, v63
	v_fmac_f32_e32 v63, 0x3f737871, v58
	v_fmac_f32_e32 v51, 0xbf737871, v47
	;; [unrolled: 1-line block ×3, first 2 shown]
	v_sub_f32_e32 v5, v5, v9
	v_add_f32_e32 v9, v9, v17
	v_add_f32_e32 v7, v11, v7
	;; [unrolled: 1-line block ×3, first 2 shown]
	v_sub_f32_e32 v55, v6, v10
	v_fmamk_f32 v54, v49, 0xbf737871, v46
	v_fmac_f32_e32 v57, 0x3f167918, v58
	v_fmac_f32_e32 v53, 0x3e9e377a, v44
	;; [unrolled: 1-line block ×6, first 2 shown]
	v_add_f32_e32 v47, v8, v4
	v_fmac_f32_e32 v50, 0x3e9e377a, v44
	v_sub_f32_e32 v21, v21, v13
	v_sub_f32_e32 v19, v20, v4
	;; [unrolled: 1-line block ×3, first 2 shown]
	v_add_f32_e32 v13, v13, v9
	v_fma_f32 v58, -0.5, v11, v16
	v_sub_f32_e32 v9, v4, v20
	v_sub_f32_e32 v11, v8, v12
	v_fmamk_f32 v68, v55, 0x3f737871, v62
	v_fmac_f32_e32 v62, 0xbf737871, v55
	v_sub_f32_e32 v48, v22, v6
	v_sub_f32_e32 v56, v14, v10
	v_fmac_f32_e32 v46, 0x3f167918, v55
	v_fma_f32 v23, -0.5, v47, v16
	v_add_f32_e32 v17, v44, v19
	v_add_f32_e32 v19, v15, v7
	;; [unrolled: 1-line block ×5, first 2 shown]
	v_sub_f32_e32 v65, v6, v22
	v_sub_f32_e32 v69, v10, v14
	v_add_f32_e32 v66, v66, v67
	v_fmac_f32_e32 v68, 0xbf167918, v49
	v_fmac_f32_e32 v62, 0x3f167918, v49
	;; [unrolled: 1-line block ×3, first 2 shown]
	v_add_f32_e32 v48, v48, v56
	v_fmac_f32_e32 v46, 0x3e9e377a, v52
	v_fmamk_f32 v55, v21, 0x3f737871, v23
	v_add_f32_e32 v4, v4, v11
	v_add_f32_e32 v6, v6, v15
	v_fmac_f32_e32 v23, 0xbf737871, v21
	v_fmamk_f32 v71, v59, 0x3f737871, v61
	v_add_f32_e32 v65, v65, v69
	v_fmac_f32_e32 v68, 0x3e9e377a, v66
	v_fmac_f32_e32 v61, 0xbf737871, v59
	;; [unrolled: 1-line block ×3, first 2 shown]
	v_fmamk_f32 v59, v5, 0xbf737871, v58
	v_fmac_f32_e32 v58, 0x3f737871, v5
	v_fmac_f32_e32 v54, 0x3e9e377a, v52
	;; [unrolled: 1-line block ×3, first 2 shown]
	v_mul_f32_e32 v52, 0x3f4f1bbd, v46
	v_fmac_f32_e32 v55, 0x3f167918, v5
	v_add_f32_e32 v4, v8, v4
	v_add_f32_e32 v6, v10, v6
	v_fmac_f32_e32 v23, 0xbf167918, v5
	v_mul_f32_e32 v20, 0xbf167918, v46
	v_add_f32_e32 v60, v64, v60
	v_fmac_f32_e32 v71, 0xbf167918, v43
	v_fmac_f32_e32 v70, 0x3e9e377a, v65
	v_mul_f32_e32 v64, 0xbe9e377a, v68
	v_fmac_f32_e32 v61, 0x3f167918, v43
	v_fmac_f32_e32 v63, 0x3e9e377a, v65
	v_mul_f32_e32 v65, 0x3e9e377a, v62
	v_fmac_f32_e32 v59, 0x3f167918, v21
	v_mul_f32_e32 v16, 0xbf737871, v68
	;; [unrolled: 2-line block ×4, first 2 shown]
	v_mul_f32_e32 v54, 0xbf167918, v54
	v_fmac_f32_e32 v52, 0x3f167918, v51
	v_fmac_f32_e32 v55, 0x3e9e377a, v17
	v_add_f32_e32 v4, v12, v4
	v_add_f32_e32 v8, v14, v6
	v_fmac_f32_e32 v23, 0x3e9e377a, v17
	v_fmac_f32_e32 v20, 0x3f4f1bbd, v51
	v_and_b32_e32 v17, 0xffff, v42
	v_fmac_f32_e32 v71, 0x3e9e377a, v60
	v_fmac_f32_e32 v64, 0x3f737871, v70
	;; [unrolled: 1-line block ×10, first 2 shown]
	v_sub_f32_e32 v7, v13, v19
	v_add_f32_e32 v15, v50, v52
	v_add_f32_e32 v13, v19, v13
	v_add_f32_e32 v14, v23, v20
	v_add_f32_e32 v12, v8, v4
	v_lshl_add_u32 v17, v17, 3, v40
	v_sub_f32_e32 v6, v4, v8
	v_add_f32_e32 v11, v71, v64
	v_add_f32_e32 v9, v61, v65
	v_add_f32_e32 v10, v59, v16
	v_add_f32_e32 v8, v58, v18
	v_add_f32_e32 v5, v53, v56
	v_add_f32_e32 v4, v55, v54
	v_sub_f32_e32 v49, v61, v65
	v_sub_f32_e32 v47, v50, v52
	;; [unrolled: 1-line block ×8, first 2 shown]
	ds_write_b128 v17, v[12:15]
	ds_write_b128 v17, v[8:11] offset:16
	ds_write_b128 v17, v[4:7] offset:32
	;; [unrolled: 1-line block ×4, first 2 shown]
.LBB0_13:
	s_or_b32 exec_lo, exec_lo, s4
	s_waitcnt lgkmcnt(0)
	s_barrier
	buffer_gl0_inv
	ds_read2_b64 v[4:7], v39 offset1:10
	ds_read2_b64 v[8:11], v39 offset0:20 offset1:30
	s_waitcnt lgkmcnt(1)
	v_mul_f32_e32 v12, v1, v7
	v_mul_f32_e32 v1, v1, v6
	s_waitcnt lgkmcnt(0)
	v_mul_f32_e32 v13, v3, v9
	v_mul_f32_e32 v3, v3, v8
	;; [unrolled: 1-line block ×4, first 2 shown]
	v_fmac_f32_e32 v12, v0, v6
	v_fma_f32 v0, v0, v7, -v1
	v_fmac_f32_e32 v13, v2, v8
	v_fma_f32 v1, v2, v9, -v3
	;; [unrolled: 2-line block ×3, first 2 shown]
	v_sub_f32_e32 v6, v4, v13
	v_sub_f32_e32 v7, v5, v1
	;; [unrolled: 1-line block ×4, first 2 shown]
	v_fma_f32 v8, v4, 2.0, -v6
	v_fma_f32 v9, v5, 2.0, -v7
	;; [unrolled: 1-line block ×4, first 2 shown]
	v_add_f32_e32 v0, v6, v2
	v_sub_f32_e32 v1, v7, v1
	v_sub_f32_e32 v2, v8, v3
	v_sub_f32_e32 v3, v9, v4
	v_fma_f32 v4, v6, 2.0, -v0
	v_fma_f32 v5, v7, 2.0, -v1
	;; [unrolled: 1-line block ×4, first 2 shown]
	ds_write2_b64 v41, v[2:3], v[0:1] offset0:20 offset1:30
	ds_write2_b64 v41, v[6:7], v[4:5] offset1:10
	s_waitcnt lgkmcnt(0)
	s_barrier
	buffer_gl0_inv
	s_and_b32 exec_lo, exec_lo, vcc_lo
	s_cbranch_execz .LBB0_15
; %bb.14:
	s_clause 0x9
	global_load_dwordx2 v[16:17], v37, s[12:13]
	global_load_dwordx2 v[18:19], v37, s[12:13] offset:32
	global_load_dwordx2 v[20:21], v37, s[12:13] offset:64
	;; [unrolled: 1-line block ×9, first 2 shown]
	ds_read_b64 v[37:38], v38
	ds_read_b64 v[54:55], v41 offset:32
	v_mad_u64_u32 v[50:51], null, s2, v24, 0
	v_mad_u64_u32 v[52:53], null, s0, v27, 0
	;; [unrolled: 1-line block ×8, first 2 shown]
	ds_read2_b64 v[0:3], v41 offset0:8 offset1:12
	ds_read2_b64 v[4:7], v41 offset0:16 offset1:20
	ds_read2_b64 v[8:11], v41 offset0:24 offset1:28
	v_mad_u64_u32 v[68:69], null, s0, v34, 0
	ds_read2_b64 v[12:15], v41 offset0:32 offset1:36
	v_mov_b32_e32 v41, v51
	v_mov_b32_e32 v51, v53
	v_mad_u64_u32 v[70:71], null, s0, v35, 0
	v_mov_b32_e32 v53, v57
	v_mov_b32_e32 v57, v59
	;; [unrolled: 1-line block ×6, first 2 shown]
	v_mad_u64_u32 v[72:73], null, s0, v36, 0
	v_mov_b32_e32 v67, v69
	s_mov_b32 s4, 0x9999999a
	s_mov_b32 s5, 0x3f999999
	s_waitcnt vmcnt(3)
	v_mad_u64_u32 v[74:75], null, s3, v24, v[41:42]
	v_mad_u64_u32 v[75:76], null, s1, v27, v[51:52]
	;; [unrolled: 1-line block ×6, first 2 shown]
	v_mov_b32_e32 v24, v71
	s_waitcnt lgkmcnt(4)
	v_mad_u64_u32 v[27:28], null, s1, v28, v[53:54]
	v_mad_u64_u32 v[32:33], null, s1, v33, v[65:66]
	;; [unrolled: 1-line block ×3, first 2 shown]
	v_mov_b32_e32 v28, v73
	v_mad_u64_u32 v[34:35], null, s1, v35, v[24:25]
	v_mov_b32_e32 v53, v75
	v_mov_b32_e32 v65, v31
	;; [unrolled: 1-line block ×4, first 2 shown]
	v_mad_u64_u32 v[35:36], null, s1, v36, v[28:29]
	v_mul_f32_e32 v24, v38, v17
	v_mul_f32_e32 v17, v37, v17
	v_mov_b32_e32 v59, v76
	v_mov_b32_e32 v69, v33
	v_mul_f32_e32 v41, v55, v19
	v_mul_f32_e32 v19, v54, v19
	v_mov_b32_e32 v61, v29
	v_mov_b32_e32 v63, v30
	v_lshlrev_b64 v[29:30], 3, v[52:53]
	v_lshlrev_b64 v[52:53], 3, v[64:65]
	s_waitcnt lgkmcnt(3)
	v_mul_f32_e32 v64, v1, v21
	v_mul_f32_e32 v21, v0, v21
	v_mov_b32_e32 v71, v34
	v_mul_f32_e32 v65, v3, v23
	v_mul_f32_e32 v23, v2, v23
	v_lshlrev_b64 v[31:32], 3, v[56:57]
	v_lshlrev_b64 v[56:57], 3, v[66:67]
	s_waitcnt lgkmcnt(2)
	v_mul_f32_e32 v66, v5, v26
	v_mul_f32_e32 v26, v4, v26
	;; [unrolled: 1-line block ×4, first 2 shown]
	v_fmac_f32_e32 v24, v37, v16
	v_fma_f32 v16, v16, v38, -v17
	v_lshlrev_b64 v[33:34], 3, v[58:59]
	v_lshlrev_b64 v[58:59], 3, v[68:69]
	s_waitcnt lgkmcnt(1)
	v_mul_f32_e32 v68, v9, v43
	v_mul_f32_e32 v43, v8, v43
	v_fmac_f32_e32 v41, v54, v18
	v_fma_f32 v17, v18, v55, -v19
	s_waitcnt vmcnt(2)
	v_mul_f32_e32 v69, v11, v45
	v_mul_f32_e32 v45, v10, v45
	v_fmac_f32_e32 v64, v0, v20
	v_fma_f32 v18, v20, v1, -v21
	v_mov_b32_e32 v73, v35
	v_lshlrev_b64 v[35:36], 3, v[60:61]
	v_lshlrev_b64 v[60:61], 3, v[70:71]
	s_waitcnt vmcnt(1) lgkmcnt(0)
	v_mul_f32_e32 v70, v13, v47
	v_mul_f32_e32 v47, v12, v47
	s_waitcnt vmcnt(0)
	v_mul_f32_e32 v71, v15, v49
	v_mul_f32_e32 v49, v14, v49
	v_fmac_f32_e32 v65, v2, v22
	v_fma_f32 v19, v22, v3, -v23
	v_fmac_f32_e32 v66, v4, v25
	v_fma_f32 v20, v25, v5, -v26
	v_fmac_f32_e32 v67, v6, v39
	v_fma_f32 v22, v39, v7, -v40
	v_cvt_f64_f32_e32 v[0:1], v24
	v_cvt_f64_f32_e32 v[2:3], v16
	v_fmac_f32_e32 v68, v8, v42
	v_fma_f32 v26, v42, v9, -v43
	v_cvt_f64_f32_e32 v[4:5], v41
	v_cvt_f64_f32_e32 v[6:7], v17
	v_fmac_f32_e32 v69, v10, v44
	v_fma_f32 v42, v44, v11, -v45
	;; [unrolled: 4-line block ×3, first 2 shown]
	v_fmac_f32_e32 v71, v14, v48
	v_fma_f32 v49, v48, v15, -v49
	v_cvt_f64_f32_e32 v[12:13], v65
	v_cvt_f64_f32_e32 v[14:15], v19
	;; [unrolled: 1-line block ×14, first 2 shown]
	v_mov_b32_e32 v51, v74
	v_mul_f64 v[0:1], v[0:1], s[4:5]
	v_mul_f64 v[2:3], v[2:3], s[4:5]
	;; [unrolled: 1-line block ×6, first 2 shown]
	v_lshlrev_b64 v[27:28], 3, v[50:51]
	v_mul_f64 v[12:13], v[12:13], s[4:5]
	v_mul_f64 v[14:15], v[14:15], s[4:5]
	;; [unrolled: 1-line block ×14, first 2 shown]
	v_lshlrev_b64 v[50:51], 3, v[62:63]
	v_add_co_u32 v62, vcc_lo, s6, v27
	v_add_co_ci_u32_e32 v63, vcc_lo, s7, v28, vcc_lo
	v_cvt_f32_f64_e32 v0, v[0:1]
	v_add_co_u32 v29, vcc_lo, v62, v29
	v_add_co_ci_u32_e32 v30, vcc_lo, v63, v30, vcc_lo
	v_add_co_u32 v31, vcc_lo, v62, v31
	v_add_co_ci_u32_e32 v32, vcc_lo, v63, v32, vcc_lo
	v_add_co_u32 v33, vcc_lo, v62, v33
	v_cvt_f32_f64_e32 v1, v[2:3]
	v_add_co_ci_u32_e32 v34, vcc_lo, v63, v34, vcc_lo
	v_cvt_f32_f64_e32 v2, v[4:5]
	v_cvt_f32_f64_e32 v3, v[6:7]
	v_add_co_u32 v35, vcc_lo, v62, v35
	v_cvt_f32_f64_e32 v4, v[8:9]
	v_cvt_f32_f64_e32 v5, v[10:11]
	v_cvt_f32_f64_e32 v6, v[12:13]
	v_cvt_f32_f64_e32 v7, v[14:15]
	v_add_co_ci_u32_e32 v36, vcc_lo, v63, v36, vcc_lo
	v_cvt_f32_f64_e32 v8, v[16:17]
	v_cvt_f32_f64_e32 v9, v[18:19]
	v_add_co_u32 v50, vcc_lo, v62, v50
	v_cvt_f32_f64_e32 v10, v[20:21]
	v_cvt_f32_f64_e32 v11, v[22:23]
	v_cvt_f32_f64_e32 v12, v[24:25]
	v_cvt_f32_f64_e32 v13, v[37:38]
	v_add_co_ci_u32_e32 v51, vcc_lo, v63, v51, vcc_lo
	v_cvt_f32_f64_e32 v14, v[39:40]
	v_cvt_f32_f64_e32 v15, v[41:42]
	v_add_co_u32 v52, vcc_lo, v62, v52
	v_cvt_f32_f64_e32 v16, v[43:44]
	v_cvt_f32_f64_e32 v17, v[45:46]
	v_cvt_f32_f64_e32 v18, v[47:48]
	v_cvt_f32_f64_e32 v19, v[54:55]
	v_add_co_ci_u32_e32 v53, vcc_lo, v63, v53, vcc_lo
	v_add_co_u32 v56, vcc_lo, v62, v56
	v_add_co_ci_u32_e32 v57, vcc_lo, v63, v57, vcc_lo
	v_lshlrev_b64 v[27:28], 3, v[72:73]
	v_add_co_u32 v20, vcc_lo, v62, v58
	v_add_co_ci_u32_e32 v21, vcc_lo, v63, v59, vcc_lo
	v_add_co_u32 v22, vcc_lo, v62, v60
	v_add_co_ci_u32_e32 v23, vcc_lo, v63, v61, vcc_lo
	;; [unrolled: 2-line block ×3, first 2 shown]
	global_store_dwordx2 v[29:30], v[0:1], off
	global_store_dwordx2 v[31:32], v[2:3], off
	;; [unrolled: 1-line block ×10, first 2 shown]
.LBB0_15:
	s_endpgm
	.section	.rodata,"a",@progbits
	.p2align	6, 0x0
	.amdhsa_kernel bluestein_single_fwd_len40_dim1_sp_op_CI_CI
		.amdhsa_group_segment_fixed_size 3840
		.amdhsa_private_segment_fixed_size 0
		.amdhsa_kernarg_size 104
		.amdhsa_user_sgpr_count 6
		.amdhsa_user_sgpr_private_segment_buffer 1
		.amdhsa_user_sgpr_dispatch_ptr 0
		.amdhsa_user_sgpr_queue_ptr 0
		.amdhsa_user_sgpr_kernarg_segment_ptr 1
		.amdhsa_user_sgpr_dispatch_id 0
		.amdhsa_user_sgpr_flat_scratch_init 0
		.amdhsa_user_sgpr_private_segment_size 0
		.amdhsa_wavefront_size32 1
		.amdhsa_uses_dynamic_stack 0
		.amdhsa_system_sgpr_private_segment_wavefront_offset 0
		.amdhsa_system_sgpr_workgroup_id_x 1
		.amdhsa_system_sgpr_workgroup_id_y 0
		.amdhsa_system_sgpr_workgroup_id_z 0
		.amdhsa_system_sgpr_workgroup_info 0
		.amdhsa_system_vgpr_workitem_id 0
		.amdhsa_next_free_vgpr 84
		.amdhsa_next_free_sgpr 14
		.amdhsa_reserve_vcc 1
		.amdhsa_reserve_flat_scratch 0
		.amdhsa_float_round_mode_32 0
		.amdhsa_float_round_mode_16_64 0
		.amdhsa_float_denorm_mode_32 3
		.amdhsa_float_denorm_mode_16_64 3
		.amdhsa_dx10_clamp 1
		.amdhsa_ieee_mode 1
		.amdhsa_fp16_overflow 0
		.amdhsa_workgroup_processor_mode 1
		.amdhsa_memory_ordered 1
		.amdhsa_forward_progress 0
		.amdhsa_shared_vgpr_count 0
		.amdhsa_exception_fp_ieee_invalid_op 0
		.amdhsa_exception_fp_denorm_src 0
		.amdhsa_exception_fp_ieee_div_zero 0
		.amdhsa_exception_fp_ieee_overflow 0
		.amdhsa_exception_fp_ieee_underflow 0
		.amdhsa_exception_fp_ieee_inexact 0
		.amdhsa_exception_int_div_zero 0
	.end_amdhsa_kernel
	.text
.Lfunc_end0:
	.size	bluestein_single_fwd_len40_dim1_sp_op_CI_CI, .Lfunc_end0-bluestein_single_fwd_len40_dim1_sp_op_CI_CI
                                        ; -- End function
	.section	.AMDGPU.csdata,"",@progbits
; Kernel info:
; codeLenInByte = 5516
; NumSgprs: 16
; NumVgprs: 84
; ScratchSize: 0
; MemoryBound: 0
; FloatMode: 240
; IeeeMode: 1
; LDSByteSize: 3840 bytes/workgroup (compile time only)
; SGPRBlocks: 1
; VGPRBlocks: 10
; NumSGPRsForWavesPerEU: 16
; NumVGPRsForWavesPerEU: 84
; Occupancy: 10
; WaveLimiterHint : 1
; COMPUTE_PGM_RSRC2:SCRATCH_EN: 0
; COMPUTE_PGM_RSRC2:USER_SGPR: 6
; COMPUTE_PGM_RSRC2:TRAP_HANDLER: 0
; COMPUTE_PGM_RSRC2:TGID_X_EN: 1
; COMPUTE_PGM_RSRC2:TGID_Y_EN: 0
; COMPUTE_PGM_RSRC2:TGID_Z_EN: 0
; COMPUTE_PGM_RSRC2:TIDIG_COMP_CNT: 0
	.text
	.p2alignl 6, 3214868480
	.fill 48, 4, 3214868480
	.type	__hip_cuid_aa9eaef6eaf6964a,@object ; @__hip_cuid_aa9eaef6eaf6964a
	.section	.bss,"aw",@nobits
	.globl	__hip_cuid_aa9eaef6eaf6964a
__hip_cuid_aa9eaef6eaf6964a:
	.byte	0                               ; 0x0
	.size	__hip_cuid_aa9eaef6eaf6964a, 1

	.ident	"AMD clang version 19.0.0git (https://github.com/RadeonOpenCompute/llvm-project roc-6.4.0 25133 c7fe45cf4b819c5991fe208aaa96edf142730f1d)"
	.section	".note.GNU-stack","",@progbits
	.addrsig
	.addrsig_sym __hip_cuid_aa9eaef6eaf6964a
	.amdgpu_metadata
---
amdhsa.kernels:
  - .args:
      - .actual_access:  read_only
        .address_space:  global
        .offset:         0
        .size:           8
        .value_kind:     global_buffer
      - .actual_access:  read_only
        .address_space:  global
        .offset:         8
        .size:           8
        .value_kind:     global_buffer
      - .actual_access:  read_only
        .address_space:  global
        .offset:         16
        .size:           8
        .value_kind:     global_buffer
      - .actual_access:  read_only
        .address_space:  global
        .offset:         24
        .size:           8
        .value_kind:     global_buffer
      - .actual_access:  read_only
        .address_space:  global
        .offset:         32
        .size:           8
        .value_kind:     global_buffer
      - .offset:         40
        .size:           8
        .value_kind:     by_value
      - .address_space:  global
        .offset:         48
        .size:           8
        .value_kind:     global_buffer
      - .address_space:  global
        .offset:         56
        .size:           8
        .value_kind:     global_buffer
      - .address_space:  global
        .offset:         64
        .size:           8
        .value_kind:     global_buffer
      - .address_space:  global
        .offset:         72
        .size:           8
        .value_kind:     global_buffer
      - .offset:         80
        .size:           4
        .value_kind:     by_value
      - .address_space:  global
        .offset:         88
        .size:           8
        .value_kind:     global_buffer
      - .address_space:  global
        .offset:         96
        .size:           8
        .value_kind:     global_buffer
    .group_segment_fixed_size: 3840
    .kernarg_segment_align: 8
    .kernarg_segment_size: 104
    .language:       OpenCL C
    .language_version:
      - 2
      - 0
    .max_flat_workgroup_size: 120
    .name:           bluestein_single_fwd_len40_dim1_sp_op_CI_CI
    .private_segment_fixed_size: 0
    .sgpr_count:     16
    .sgpr_spill_count: 0
    .symbol:         bluestein_single_fwd_len40_dim1_sp_op_CI_CI.kd
    .uniform_work_group_size: 1
    .uses_dynamic_stack: false
    .vgpr_count:     84
    .vgpr_spill_count: 0
    .wavefront_size: 32
    .workgroup_processor_mode: 1
amdhsa.target:   amdgcn-amd-amdhsa--gfx1030
amdhsa.version:
  - 1
  - 2
...

	.end_amdgpu_metadata
